;; amdgpu-corpus repo=ROCm/rocFFT kind=compiled arch=gfx950 opt=O3
	.text
	.amdgcn_target "amdgcn-amd-amdhsa--gfx950"
	.amdhsa_code_object_version 6
	.protected	fft_rtc_fwd_len112_factors_7_2_8_wgs_64_tpt_8_dim2_dp_op_CI_CI_sbrc_aligned_dirReg ; -- Begin function fft_rtc_fwd_len112_factors_7_2_8_wgs_64_tpt_8_dim2_dp_op_CI_CI_sbrc_aligned_dirReg
	.globl	fft_rtc_fwd_len112_factors_7_2_8_wgs_64_tpt_8_dim2_dp_op_CI_CI_sbrc_aligned_dirReg
	.p2align	8
	.type	fft_rtc_fwd_len112_factors_7_2_8_wgs_64_tpt_8_dim2_dp_op_CI_CI_sbrc_aligned_dirReg,@function
fft_rtc_fwd_len112_factors_7_2_8_wgs_64_tpt_8_dim2_dp_op_CI_CI_sbrc_aligned_dirReg: ; @fft_rtc_fwd_len112_factors_7_2_8_wgs_64_tpt_8_dim2_dp_op_CI_CI_sbrc_aligned_dirReg
; %bb.0:
	s_load_dwordx8 s[4:11], s[0:1], 0x0
	v_mov_b32_e32 v67, 0
	s_mov_b32 s24, 0xaaaaaaaa
	s_mov_b32 s25, 0xbff2aaaa
	;; [unrolled: 1-line block ×3, first 2 shown]
	s_waitcnt lgkmcnt(0)
	s_load_dword s3, s[6:7], 0x8
	s_load_dwordx4 s[12:15], s[0:1], 0x50
	s_load_dwordx4 s[16:19], s[8:9], 0x0
	s_nop 0
	s_load_dwordx2 s[6:7], s[8:9], 0x10
	s_mov_b32 s29, 0xbfe11646
	s_mov_b32 s26, 0x5476071b
	;; [unrolled: 1-line block ×3, first 2 shown]
	s_waitcnt lgkmcnt(0)
	s_add_i32 s3, s3, -1
	s_lshr_b32 s20, s3, 3
	s_add_i32 s21, s20, 1
	v_cvt_f32_u32_e32 v1, s21
	v_mad_u64_u32 v[2:3], s[0:1], s16, v0, 0
	s_not_b32 s0, s20
	v_rcp_iflag_f32_e32 v1, v1
	v_mov_b32_e32 v4, v3
	s_mov_b32 s3, 0
	s_mov_b32 s20, s26
	v_mul_f32_e32 v1, 0x4f7ffffe, v1
	v_cvt_u32_f32_e32 v1, v1
	s_mov_b32 s23, 0xbfd5d0dc
	v_cmp_gt_u32_e32 vcc, 48, v0
	v_readfirstlane_b32 s1, v1
	s_mul_i32 s0, s0, s1
	s_mul_hi_u32 s0, s1, s0
	s_add_i32 s1, s1, s0
	s_mul_hi_u32 s0, s2, s1
	s_mul_i32 s1, s0, s21
	s_sub_i32 s1, s2, s1
	s_add_i32 s8, s0, 1
	s_sub_i32 s9, s1, s21
	s_cmp_ge_u32 s1, s21
	s_cselect_b32 s0, s8, s0
	s_cselect_b32 s1, s9, s1
	s_add_i32 s8, s0, 1
	s_cmp_ge_u32 s1, s21
	s_cselect_b32 s31, s8, s0
	s_mul_i32 s1, s31, s21
	s_mul_i32 s7, s7, s31
	s_mul_hi_u32 s8, s6, s31
	s_mul_i32 s0, s6, s31
	s_sub_i32 s2, s2, s1
	s_add_i32 s1, s8, s7
	s_lshl_b32 s30, s2, 3
	v_mad_u64_u32 v[4:5], s[6:7], s17, v0, v[4:5]
	s_lshl_b64 s[0:1], s[0:1], 4
	s_mul_i32 s2, s30, s18
	s_add_u32 s6, s12, s0
	s_addc_u32 s7, s13, s1
	s_lshl_b64 s[0:1], s[2:3], 4
	s_add_u32 s0, s6, s0
	v_mov_b32_e32 v3, v4
	s_addc_u32 s1, s7, s1
	v_or_b32_e32 v1, 64, v0
	s_movk_i32 s6, 0x24a
	v_lshl_add_u64 v[10:11], v[2:3], 4, s[0:1]
	v_mul_u32_u24_sdwa v2, v1, s6 dst_sel:DWORD dst_unused:UNUSED_PAD src0_sel:WORD_0 src1_sel:DWORD
	v_lshrrev_b32_e32 v58, 16, v2
	v_mul_lo_u16_e32 v2, 0x70, v58
	v_sub_u16_e32 v1, v1, v2
	v_mad_u64_u32 v[2:3], s[2:3], s16, v1, 0
	v_mov_b32_e32 v4, v3
	v_mad_u64_u32 v[4:5], s[2:3], s17, v1, v[4:5]
	v_mov_b32_e32 v3, v4
	v_mul_lo_u32 v66, s18, v58
	v_lshl_add_u64 v[2:3], v[2:3], 4, s[0:1]
	v_lshl_add_u64 v[12:13], v[66:67], 4, v[2:3]
	global_load_dwordx4 v[2:5], v[10:11], off
	global_load_dwordx4 v[6:9], v[12:13], off
	v_or_b32_e32 v10, 0x80, v0
	v_mul_u32_u24_sdwa v11, v10, s6 dst_sel:DWORD dst_unused:UNUSED_PAD src0_sel:WORD_0 src1_sel:DWORD
	v_lshrrev_b32_e32 v59, 16, v11
	v_mul_lo_u16_e32 v11, 0x70, v59
	v_sub_u16_e32 v60, v10, v11
	v_mad_u64_u32 v[10:11], s[2:3], s16, v60, 0
	v_mov_b32_e32 v12, v11
	v_mad_u64_u32 v[12:13], s[2:3], s17, v60, v[12:13]
	v_mov_b32_e32 v11, v12
	v_mul_lo_u32 v66, s18, v59
	v_lshl_add_u64 v[10:11], v[10:11], 4, s[0:1]
	v_lshl_add_u64 v[18:19], v[66:67], 4, v[10:11]
	v_or_b32_e32 v10, 0xc0, v0
	v_mul_u32_u24_sdwa v11, v10, s6 dst_sel:DWORD dst_unused:UNUSED_PAD src0_sel:WORD_0 src1_sel:DWORD
	v_lshrrev_b32_e32 v61, 16, v11
	v_mul_lo_u16_e32 v11, 0x70, v61
	v_sub_u16_e32 v62, v10, v11
	v_mad_u64_u32 v[10:11], s[2:3], s16, v62, 0
	v_mov_b32_e32 v12, v11
	v_mad_u64_u32 v[12:13], s[2:3], s17, v62, v[12:13]
	v_mov_b32_e32 v11, v12
	v_mul_lo_u32 v66, s18, v61
	v_lshl_add_u64 v[10:11], v[10:11], 4, s[0:1]
	v_lshl_add_u64 v[20:21], v[66:67], 4, v[10:11]
	global_load_dwordx4 v[14:17], v[18:19], off
	global_load_dwordx4 v[10:13], v[20:21], off
	v_or_b32_e32 v18, 0x100, v0
	v_mul_u32_u24_sdwa v19, v18, s6 dst_sel:DWORD dst_unused:UNUSED_PAD src0_sel:WORD_0 src1_sel:DWORD
	v_lshrrev_b32_e32 v63, 16, v19
	v_mul_lo_u16_e32 v19, 0x70, v63
	v_sub_u16_e32 v64, v18, v19
	v_mad_u64_u32 v[18:19], s[2:3], s16, v64, 0
	v_mov_b32_e32 v20, v19
	v_mad_u64_u32 v[20:21], s[2:3], s17, v64, v[20:21]
	v_mov_b32_e32 v19, v20
	v_mul_lo_u32 v66, s18, v63
	v_lshl_add_u64 v[18:19], v[18:19], 4, s[0:1]
	v_lshl_add_u64 v[26:27], v[66:67], 4, v[18:19]
	v_or_b32_e32 v18, 0x140, v0
	;; [unrolled: 26-line block ×3, first 2 shown]
	v_mul_u32_u24_sdwa v27, v26, s6 dst_sel:DWORD dst_unused:UNUSED_PAD src0_sel:WORD_0 src1_sel:DWORD
	v_lshrrev_b32_e32 v71, 16, v27
	v_mul_lo_u16_e32 v27, 0x70, v71
	v_sub_u16_e32 v72, v26, v27
	v_mad_u64_u32 v[26:27], s[2:3], s16, v72, 0
	v_mov_b32_e32 v28, v27
	v_mad_u64_u32 v[28:29], s[2:3], s17, v72, v[28:29]
	v_mov_b32_e32 v27, v28
	v_mul_lo_u32 v66, s18, v71
	v_lshl_add_u64 v[26:27], v[26:27], 4, s[0:1]
	v_lshl_add_u64 v[36:37], v[66:67], 4, v[26:27]
	global_load_dwordx4 v[26:29], v[34:35], off
	global_load_dwordx4 v[30:33], v[36:37], off
	v_or_b32_e32 v34, 0x200, v0
	s_movk_i32 s6, 0x493
	v_mul_u32_u24_sdwa v35, v34, s6 dst_sel:DWORD dst_unused:UNUSED_PAD src0_sel:WORD_0 src1_sel:DWORD
	v_lshrrev_b32_e32 v73, 17, v35
	v_mul_lo_u16_e32 v35, 0x70, v73
	v_sub_u16_e32 v74, v34, v35
	v_mad_u64_u32 v[34:35], s[2:3], s16, v74, 0
	v_mov_b32_e32 v36, v35
	v_mad_u64_u32 v[36:37], s[2:3], s17, v74, v[36:37]
	v_mov_b32_e32 v35, v36
	v_mul_lo_u32 v66, s18, v73
	v_lshl_add_u64 v[34:35], v[34:35], 4, s[0:1]
	v_lshl_add_u64 v[42:43], v[66:67], 4, v[34:35]
	v_or_b32_e32 v34, 0x240, v0
	v_mul_u32_u24_sdwa v35, v34, s6 dst_sel:DWORD dst_unused:UNUSED_PAD src0_sel:WORD_0 src1_sel:DWORD
	v_lshrrev_b32_e32 v75, 17, v35
	v_mul_lo_u16_e32 v35, 0x70, v75
	v_sub_u16_e32 v76, v34, v35
	v_mad_u64_u32 v[34:35], s[2:3], s16, v76, 0
	v_mov_b32_e32 v36, v35
	v_mad_u64_u32 v[36:37], s[2:3], s17, v76, v[36:37]
	v_mov_b32_e32 v35, v36
	v_mul_lo_u32 v66, s18, v75
	v_lshl_add_u64 v[34:35], v[34:35], 4, s[0:1]
	v_lshl_add_u64 v[44:45], v[66:67], 4, v[34:35]
	global_load_dwordx4 v[34:37], v[42:43], off
	global_load_dwordx4 v[38:41], v[44:45], off
	v_or_b32_e32 v42, 0x280, v0
	v_mul_u32_u24_sdwa v43, v42, s6 dst_sel:DWORD dst_unused:UNUSED_PAD src0_sel:WORD_0 src1_sel:DWORD
	v_lshrrev_b32_e32 v77, 17, v43
	v_mul_lo_u16_e32 v43, 0x70, v77
	v_sub_u16_e32 v78, v42, v43
	v_mad_u64_u32 v[42:43], s[2:3], s16, v78, 0
	v_mov_b32_e32 v44, v43
	v_mad_u64_u32 v[44:45], s[2:3], s17, v78, v[44:45]
	v_mov_b32_e32 v43, v44
	v_mul_lo_u32 v66, s18, v77
	v_lshl_add_u64 v[42:43], v[42:43], 4, s[0:1]
	v_lshl_add_u64 v[50:51], v[66:67], 4, v[42:43]
	v_or_b32_e32 v42, 0x2c0, v0
	v_mul_u32_u24_sdwa v43, v42, s6 dst_sel:DWORD dst_unused:UNUSED_PAD src0_sel:WORD_0 src1_sel:DWORD
	v_lshrrev_b32_e32 v79, 17, v43
	v_mul_lo_u16_e32 v43, 0x70, v79
	v_sub_u16_e32 v80, v42, v43
	v_mad_u64_u32 v[42:43], s[2:3], s16, v80, 0
	v_mov_b32_e32 v44, v43
	v_mad_u64_u32 v[44:45], s[2:3], s17, v80, v[44:45]
	v_mov_b32_e32 v43, v44
	v_mul_lo_u32 v66, s18, v79
	v_lshl_add_u64 v[42:43], v[42:43], 4, s[0:1]
	v_lshl_add_u64 v[52:53], v[66:67], 4, v[42:43]
	global_load_dwordx4 v[42:45], v[50:51], off
	global_load_dwordx4 v[46:49], v[52:53], off
	v_or_b32_e32 v50, 0x300, v0
	v_mul_u32_u24_sdwa v51, v50, s6 dst_sel:DWORD dst_unused:UNUSED_PAD src0_sel:WORD_0 src1_sel:DWORD
	v_lshrrev_b32_e32 v81, 17, v51
	v_mul_lo_u16_e32 v51, 0x70, v81
	v_sub_u16_e32 v82, v50, v51
	v_mad_u64_u32 v[50:51], s[2:3], s16, v82, 0
	v_mov_b32_e32 v52, v51
	v_mad_u64_u32 v[52:53], s[2:3], s17, v82, v[52:53]
	v_mov_b32_e32 v51, v52
	v_or_b32_e32 v52, 0x340, v0
	v_mul_u32_u24_sdwa v53, v52, s6 dst_sel:DWORD dst_unused:UNUSED_PAD src0_sel:WORD_0 src1_sel:DWORD
	v_lshrrev_b32_e32 v83, 17, v53
	v_mul_lo_u16_e32 v53, 0x70, v83
	v_sub_u16_e32 v84, v52, v53
	v_mul_lo_u32 v66, s18, v81
	v_lshl_add_u64 v[50:51], v[50:51], 4, s[0:1]
	v_mad_u64_u32 v[54:55], s[2:3], s16, v84, 0
	v_lshl_add_u64 v[50:51], v[66:67], 4, v[50:51]
	v_mov_b32_e32 v52, v55
	v_mad_u64_u32 v[56:57], s[2:3], s17, v84, v[52:53]
	global_load_dwordx4 v[50:53], v[50:51], off
	v_mov_b32_e32 v55, v56
	v_mul_lo_u32 v66, s18, v83
	v_lshl_add_u64 v[54:55], v[54:55], 4, s[0:1]
	v_lshl_add_u64 v[54:55], v[66:67], 4, v[54:55]
	global_load_dwordx4 v[54:57], v[54:55], off
	v_lshlrev_b16_e32 v1, 3, v1
	v_lshlrev_b16_e32 v60, 3, v60
	;; [unrolled: 1-line block ×3, first 2 shown]
	v_or_b32_e32 v1, v1, v58
	v_or_b32_e32 v58, v60, v59
	v_or_b32_e32 v59, v62, v61
	v_and_b32_e32 v1, 0xffff, v1
	v_lshl_add_u32 v66, v0, 7, 0
	v_and_b32_e32 v58, 0xffff, v58
	v_and_b32_e32 v59, 0xffff, v59
	v_lshl_add_u32 v1, v1, 4, 0
	v_lshl_add_u32 v58, v58, 4, 0
	s_waitcnt vmcnt(13)
	ds_write_b128 v66, v[2:5]
	s_waitcnt vmcnt(12)
	ds_write_b128 v1, v[6:9]
	;; [unrolled: 2-line block ×3, first 2 shown]
	v_lshl_add_u32 v1, v59, 4, 0
	s_waitcnt vmcnt(10)
	ds_write_b128 v1, v[10:13]
	v_lshlrev_b16_e32 v1, 3, v64
	v_or_b32_e32 v1, v1, v63
	v_lshlrev_b16_e32 v2, 3, v68
	v_and_b32_e32 v1, 0xffff, v1
	v_or_b32_e32 v2, v2, v65
	v_lshl_add_u32 v1, v1, 4, 0
	v_and_b32_e32 v2, 0xffff, v2
	s_waitcnt vmcnt(9)
	ds_write_b128 v1, v[18:21]
	v_lshl_add_u32 v2, v2, 4, 0
	s_load_dwordx4 s[0:3], s[10:11], 0x0
	s_load_dwordx2 s[6:7], s[10:11], 0x10
	s_waitcnt vmcnt(8)
	ds_write_b128 v2, v[22:25]
	v_lshlrev_b16_e32 v2, 3, v70
	v_or_b32_e32 v2, v2, v69
	v_and_b32_e32 v2, 0xffff, v2
	v_lshl_add_u32 v2, v2, 4, 0
	s_waitcnt vmcnt(7)
	ds_write_b128 v2, v[26:29]
	v_lshlrev_b16_e32 v2, 3, v72
	v_or_b32_e32 v2, v2, v71
	v_and_b32_e32 v2, 0xffff, v2
	v_lshl_add_u32 v2, v2, 4, 0
	;; [unrolled: 6-line block ×7, first 2 shown]
	v_and_b32_e32 v1, 7, v0
	v_lshrrev_b32_e32 v68, 3, v0
	v_lshlrev_b32_e32 v26, 4, v1
	s_mov_b32 s8, 0x36b3c0b5
	s_mov_b32 s18, 0x37e14327
	;; [unrolled: 1-line block ×11, first 2 shown]
	s_waitcnt vmcnt(1)
	ds_write_b128 v2, v[50:53]
	v_lshlrev_b16_e32 v2, 3, v84
	v_or_b32_e32 v2, v2, v83
	v_and_b32_e32 v2, 0xffff, v2
	v_lshl_add_u32 v2, v2, 4, 0
	s_waitcnt vmcnt(0)
	ds_write_b128 v2, v[54:57]
	v_lshlrev_b32_e32 v2, 7, v68
	v_add3_u32 v30, 0, v2, v26
	s_waitcnt lgkmcnt(0)
	; wave barrier
	s_waitcnt lgkmcnt(0)
	ds_read_b128 v[2:5], v30 offset:12288
	ds_read_b128 v[6:9], v30 offset:2048
	;; [unrolled: 1-line block ×10, first 2 shown]
	s_waitcnt lgkmcnt(8)
	v_add_f64 v[28:29], v[6:7], v[2:3]
	v_add_f64 v[48:49], v[8:9], v[4:5]
	v_add_f64 v[50:51], v[6:7], -v[2:3]
	v_add_f64 v[52:53], v[8:9], -v[4:5]
	ds_read_b128 v[2:5], v30 offset:8192
	ds_read_b128 v[6:9], v30 offset:9216
	s_waitcnt lgkmcnt(4)
	v_add_f64 v[54:55], v[14:15], v[36:37]
	v_add_f64 v[56:57], v[16:17], v[38:39]
	v_add_f64 v[14:15], v[14:15], -v[36:37]
	v_add_f64 v[16:17], v[16:17], -v[38:39]
	s_waitcnt lgkmcnt(1)
	v_add_f64 v[36:37], v[22:23], v[2:3]
	v_add_f64 v[38:39], v[24:25], v[4:5]
	v_add_f64 v[22:23], v[2:3], -v[22:23]
	v_add_f64 v[24:25], v[4:5], -v[24:25]
	ds_read_b128 v[2:5], v30
	s_waitcnt lgkmcnt(1)
	v_add_f64 v[70:71], v[32:33], v[6:7]
	v_add_f64 v[74:75], v[6:7], -v[32:33]
	v_add_f64 v[6:7], v[54:55], v[28:29]
	v_add_f64 v[58:59], v[10:11], v[44:45]
	v_add_f64 v[62:63], v[10:11], -v[44:45]
	v_add_f64 v[72:73], v[34:35], v[8:9]
	v_add_f64 v[76:77], v[8:9], -v[34:35]
	v_add_f64 v[8:9], v[56:57], v[48:49]
	v_add_f64 v[10:11], v[36:37], v[6:7]
	;; [unrolled: 1-line block ×3, first 2 shown]
	v_add_f64 v[64:65], v[12:13], -v[46:47]
	v_add_f64 v[12:13], v[38:39], v[8:9]
	ds_read_b128 v[6:9], v30 offset:1024
	s_waitcnt lgkmcnt(1)
	v_add_f64 v[2:3], v[2:3], v[10:11]
	v_add_f64 v[4:5], v[4:5], v[12:13]
	v_mov_b64_e32 v[32:33], v[2:3]
	v_add_f64 v[44:45], v[18:19], v[40:41]
	v_add_f64 v[40:41], v[18:19], -v[40:41]
	v_fmac_f64_e32 v[32:33], s[24:25], v[10:11]
	v_mov_b64_e32 v[34:35], v[4:5]
	v_add_f64 v[18:19], v[54:55], -v[28:29]
	v_add_f64 v[54:55], v[36:37], -v[54:55]
	v_add_f64 v[10:11], v[22:23], v[14:15]
	v_add_f64 v[80:81], v[24:25], -v[16:17]
	v_add_f64 v[28:29], v[28:29], -v[36:37]
	v_add_f64 v[46:47], v[20:21], v[42:43]
	v_add_f64 v[42:43], v[20:21], -v[42:43]
	v_fmac_f64_e32 v[34:35], s[24:25], v[12:13]
	v_add_f64 v[20:21], v[56:57], -v[48:49]
	v_add_f64 v[56:57], v[38:39], -v[56:57]
	v_add_f64 v[12:13], v[22:23], -v[14:15]
	v_add_f64 v[78:79], v[14:15], -v[50:51]
	v_add_f64 v[14:15], v[24:25], v[16:17]
	v_add_f64 v[82:83], v[16:17], -v[52:53]
	v_add_f64 v[84:85], v[10:11], v[50:51]
	v_mul_f64 v[80:81], v[80:81], s[28:29]
	v_mul_f64 v[10:11], v[54:55], s[8:9]
	v_add_f64 v[36:37], v[48:49], -v[38:39]
	v_add_f64 v[48:49], v[52:53], -v[24:25]
	v_mul_f64 v[28:29], v[28:29], s[18:19]
	v_add_f64 v[86:87], v[14:15], v[52:53]
	v_mul_f64 v[88:89], v[12:13], s[28:29]
	v_fma_f64 v[10:11], v[18:19], s[26:27], -v[10:11]
	v_mul_f64 v[12:13], v[56:57], s[8:9]
	v_fma_f64 v[92:93], v[82:83], s[12:13], -v[80:81]
	;; [unrolled: 2-line block ×3, first 2 shown]
	v_fmac_f64_e32 v[28:29], s[8:9], v[54:55]
	v_fmac_f64_e32 v[80:81], s[16:17], v[48:49]
	v_fma_f64 v[12:13], v[20:21], s[26:27], -v[12:13]
	v_add_f64 v[38:39], v[50:51], -v[22:23]
	v_mul_f64 v[22:23], v[78:79], s[12:13]
	v_mul_f64 v[24:25], v[82:83], s[12:13]
	v_fma_f64 v[20:21], v[20:21], s[20:21], -v[36:37]
	s_mov_b32 s22, s16
	v_fmac_f64_e32 v[36:37], s[8:9], v[56:57]
	v_add_f64 v[28:29], v[28:29], v[32:33]
	v_fmac_f64_e32 v[80:81], s[10:11], v[86:87]
	v_add_f64 v[14:15], v[10:11], v[32:33]
	v_fma_f64 v[90:91], v[78:79], s[12:13], -v[88:89]
	v_fma_f64 v[50:51], v[38:39], s[22:23], -v[22:23]
	;; [unrolled: 1-line block ×3, first 2 shown]
	v_add_f64 v[24:25], v[18:19], v[32:33]
	v_fmac_f64_e32 v[88:89], s[16:17], v[38:39]
	v_add_f64 v[38:39], v[36:37], v[34:35]
	v_add_f64 v[32:33], v[28:29], v[80:81]
	v_add_f64 v[36:37], v[28:29], -v[80:81]
	v_add_f64 v[28:29], v[44:45], v[58:59]
	v_add_f64 v[28:29], v[70:71], v[28:29]
	;; [unrolled: 1-line block ×4, first 2 shown]
	s_waitcnt lgkmcnt(0)
	v_add_f64 v[6:7], v[6:7], v[28:29]
	v_add_f64 v[52:53], v[20:21], v[34:35]
	v_fmac_f64_e32 v[50:51], s[10:11], v[84:85]
	v_fmac_f64_e32 v[22:23], s[10:11], v[86:87]
	v_add_f64 v[8:9], v[8:9], v[48:49]
	v_mov_b64_e32 v[56:57], v[6:7]
	v_add_f64 v[18:19], v[24:25], v[22:23]
	v_add_f64 v[20:21], v[52:53], -v[50:51]
	v_add_f64 v[22:23], v[24:25], -v[22:23]
	v_add_f64 v[24:25], v[50:51], v[52:53]
	v_fmac_f64_e32 v[88:89], s[10:11], v[84:85]
	v_fmac_f64_e32 v[56:57], s[24:25], v[28:29]
	v_mov_b64_e32 v[28:29], v[8:9]
	v_add_f64 v[50:51], v[46:47], -v[60:61]
	v_add_f64 v[80:81], v[72:73], -v[46:47]
	;; [unrolled: 1-line block ×3, first 2 shown]
	v_add_f64 v[16:17], v[12:13], v[34:35]
	v_fmac_f64_e32 v[90:91], s[10:11], v[84:85]
	v_add_f64 v[34:35], v[38:39], -v[88:89]
	v_add_f64 v[38:39], v[88:89], v[38:39]
	v_fmac_f64_e32 v[28:29], s[24:25], v[48:49]
	v_add_f64 v[48:49], v[44:45], -v[58:59]
	v_add_f64 v[78:79], v[70:71], -v[44:45]
	v_add_f64 v[44:45], v[74:75], v[40:41]
	v_add_f64 v[52:53], v[40:41], -v[62:63]
	v_add_f64 v[40:41], v[76:77], v[42:43]
	v_add_f64 v[54:55], v[76:77], -v[42:43]
	v_add_f64 v[82:83], v[42:43], -v[64:65]
	v_mul_f64 v[88:89], v[46:47], s[28:29]
	v_mul_f64 v[42:43], v[80:81], s[8:9]
	v_add_f64 v[12:13], v[90:91], v[16:17]
	v_add_f64 v[16:17], v[16:17], -v[90:91]
	v_add_f64 v[84:85], v[44:45], v[62:63]
	v_mul_f64 v[90:91], v[54:55], s[28:29]
	v_fma_f64 v[42:43], v[50:51], s[26:27], -v[42:43]
	v_fma_f64 v[54:55], v[52:53], s[12:13], -v[88:89]
	v_add_f64 v[46:47], v[42:43], v[28:29]
	v_fmac_f64_e32 v[54:55], s[10:11], v[84:85]
	v_add_f64 v[42:43], v[54:55], v[46:47]
	v_add_f64 v[46:47], v[46:47], -v[54:55]
	v_add_f64 v[54:55], v[58:59], -v[70:71]
	;; [unrolled: 1-line block ×3, first 2 shown]
	v_fmac_f64_e32 v[92:93], s[10:11], v[86:87]
	v_add_f64 v[86:87], v[40:41], v[64:65]
	v_mul_f64 v[40:41], v[78:79], s[8:9]
	v_add_f64 v[60:61], v[62:63], -v[74:75]
	v_add_f64 v[62:63], v[64:65], -v[76:77]
	v_mul_f64 v[64:65], v[54:55], s[18:19]
	v_mul_f64 v[58:59], v[58:59], s[18:19]
	;; [unrolled: 1-line block ×4, first 2 shown]
	v_fma_f64 v[40:41], v[48:49], s[26:27], -v[40:41]
	v_fma_f64 v[48:49], v[48:49], s[20:21], -v[64:65]
	;; [unrolled: 1-line block ×5, first 2 shown]
	v_add_f64 v[54:55], v[48:49], v[56:57]
	v_add_f64 v[72:73], v[50:51], v[28:29]
	v_fmac_f64_e32 v[70:71], s[10:11], v[84:85]
	v_fmac_f64_e32 v[52:53], s[10:11], v[86:87]
	v_add_f64 v[48:49], v[54:55], v[52:53]
	v_add_f64 v[50:51], v[72:73], -v[70:71]
	v_add_f64 v[52:53], v[54:55], -v[52:53]
	v_add_f64 v[54:55], v[70:71], v[72:73]
	v_fmac_f64_e32 v[58:59], s[8:9], v[80:81]
	v_fma_f64 v[70:71], s[16:17], v[60:61], v[88:89]
	v_add_f64 v[28:29], v[58:59], v[28:29]
	v_fmac_f64_e32 v[70:71], s[10:11], v[84:85]
	s_movk_i32 s3, 0x300
	v_add_f64 v[10:11], v[14:15], -v[92:93]
	v_add_f64 v[14:15], v[14:15], v[92:93]
	v_fma_f64 v[92:93], v[82:83], s[12:13], -v[90:91]
	v_fmac_f64_e32 v[90:91], s[16:17], v[62:63]
	v_add_f64 v[58:59], v[28:29], -v[70:71]
	v_add_f64 v[62:63], v[70:71], v[28:29]
	v_mad_u32_u24 v27, v68, s3, v30
	v_mul_lo_u16_e32 v75, 37, v68
	v_mov_b32_e32 v28, 7
	s_waitcnt lgkmcnt(0)
	; wave barrier
	ds_write_b128 v27, v[2:5]
	ds_write_b128 v27, v[32:35] offset:128
	ds_write_b128 v27, v[18:21] offset:256
	;; [unrolled: 1-line block ×6, first 2 shown]
	v_or_b32_e32 v69, 8, v68
	v_mul_lo_u16_sdwa v2, v75, v28 dst_sel:DWORD dst_unused:UNUSED_PAD src0_sel:BYTE_1 src1_sel:DWORD
	v_sub_u16_e32 v2, v68, v2
	v_mul_lo_u16_e32 v77, 37, v69
	v_and_b32_e32 v76, 0xff, v2
	v_mul_lo_u16_sdwa v2, v77, v28 dst_sel:DWORD dst_unused:UNUSED_PAD src0_sel:BYTE_1 src1_sel:DWORD
	v_fma_f64 v[64:65], s[8:9], v[78:79], v[64:65]
	v_or_b32_e32 v66, 16, v68
	v_sub_u16_e32 v2, v69, v2
	v_add_f64 v[44:45], v[40:41], v[56:57]
	v_fmac_f64_e32 v[92:93], s[10:11], v[86:87]
	v_add_f64 v[60:61], v[64:65], v[56:57]
	v_fmac_f64_e32 v[90:91], s[10:11], v[86:87]
	v_lshlrev_b32_e32 v10, 4, v76
	v_and_b32_e32 v78, 0xff, v2
	v_mul_lo_u16_e32 v79, 37, v66
	v_add_f64 v[40:41], v[44:45], -v[92:93]
	v_add_f64 v[44:45], v[44:45], v[92:93]
	v_add_f64 v[56:57], v[60:61], v[90:91]
	v_add_f64 v[60:61], v[60:61], -v[90:91]
	ds_write_b128 v27, v[6:9] offset:7168
	ds_write_b128 v27, v[56:59] offset:7296
	ds_write_b128 v27, v[48:51] offset:7424
	ds_write_b128 v27, v[40:43] offset:7552
	ds_write_b128 v27, v[44:47] offset:7680
	ds_write_b128 v27, v[52:55] offset:7808
	ds_write_b128 v27, v[60:63] offset:7936
	s_waitcnt lgkmcnt(0)
	; wave barrier
	s_waitcnt lgkmcnt(0)
	v_or_b32_e32 v74, 24, v68
	v_lshlrev_b32_e32 v11, 4, v78
	global_load_dwordx4 v[2:5], v10, s[4:5]
	global_load_dwordx4 v[6:9], v11, s[4:5]
	v_mul_lo_u16_sdwa v10, v79, v28 dst_sel:DWORD dst_unused:UNUSED_PAD src0_sel:BYTE_1 src1_sel:DWORD
	v_sub_u16_e32 v10, v66, v10
	v_mul_lo_u16_e32 v81, 37, v74
	v_and_b32_e32 v80, 0xff, v10
	v_mul_lo_u16_sdwa v10, v81, v28 dst_sel:DWORD dst_unused:UNUSED_PAD src0_sel:BYTE_1 src1_sel:DWORD
	v_sub_u16_e32 v10, v74, v10
	v_or_b32_e32 v83, 32, v68
	v_lshlrev_b32_e32 v18, 4, v80
	v_and_b32_e32 v82, 0xff, v10
	v_mul_lo_u16_e32 v85, 37, v83
	v_lshlrev_b32_e32 v19, 4, v82
	global_load_dwordx4 v[10:13], v18, s[4:5]
	global_load_dwordx4 v[14:17], v19, s[4:5]
	v_mul_lo_u16_sdwa v18, v85, v28 dst_sel:DWORD dst_unused:UNUSED_PAD src0_sel:BYTE_1 src1_sel:DWORD
	v_or_b32_e32 v84, 40, v68
	v_sub_u16_e32 v18, v83, v18
	v_and_b32_e32 v86, 0xff, v18
	v_mul_lo_u16_e32 v87, 37, v84
	v_lshlrev_b32_e32 v18, 4, v86
	v_mul_lo_u16_sdwa v19, v87, v28 dst_sel:DWORD dst_unused:UNUSED_PAD src0_sel:BYTE_1 src1_sel:DWORD
	v_sub_u16_e32 v22, v84, v19
	global_load_dwordx4 v[18:21], v18, s[4:5]
	v_or_b32_e32 v89, 48, v68
	v_and_b32_e32 v88, 0xff, v22
	v_mul_lo_u16_e32 v90, 37, v89
	v_lshlrev_b32_e32 v22, 4, v88
	global_load_dwordx4 v[22:25], v22, s[4:5]
	v_mul_lo_u16_sdwa v28, v90, v28 dst_sel:DWORD dst_unused:UNUSED_PAD src0_sel:BYTE_1 src1_sel:DWORD
	v_sub_u16_e32 v28, v89, v28
	v_and_b32_e32 v91, 0xff, v28
	v_lshlrev_b32_e32 v28, 4, v91
	global_load_dwordx4 v[32:35], v28, s[4:5]
	ds_read_b128 v[36:39], v30 offset:7168
	ds_read_b128 v[40:43], v30 offset:8192
	;; [unrolled: 1-line block ×3, first 2 shown]
	ds_read_b128 v[48:51], v30
	s_movk_i32 s3, 0x1c00
	s_waitcnt vmcnt(6) lgkmcnt(3)
	v_mul_f64 v[28:29], v[38:39], v[4:5]
	v_mul_f64 v[52:53], v[36:37], v[4:5]
	v_fma_f64 v[28:29], v[36:37], v[2:3], -v[28:29]
	v_fmac_f64_e32 v[52:53], v[38:39], v[2:3]
	ds_read_b128 v[2:5], v30 offset:10240
	ds_read_b128 v[36:39], v30 offset:11264
	s_waitcnt vmcnt(5) lgkmcnt(4)
	v_mul_f64 v[54:55], v[42:43], v[8:9]
	v_fma_f64 v[54:55], v[40:41], v[6:7], -v[54:55]
	v_mul_f64 v[40:41], v[40:41], v[8:9]
	v_fmac_f64_e32 v[40:41], v[42:43], v[6:7]
	s_waitcnt vmcnt(4) lgkmcnt(3)
	v_mul_f64 v[6:7], v[46:47], v[12:13]
	v_fma_f64 v[42:43], v[44:45], v[10:11], -v[6:7]
	v_mul_f64 v[44:45], v[44:45], v[12:13]
	s_waitcnt vmcnt(3) lgkmcnt(1)
	v_mul_f64 v[6:7], v[4:5], v[16:17]
	v_mul_f64 v[56:57], v[2:3], v[16:17]
	v_fmac_f64_e32 v[44:45], v[46:47], v[10:11]
	v_fma_f64 v[46:47], v[2:3], v[14:15], -v[6:7]
	v_fmac_f64_e32 v[56:57], v[4:5], v[14:15]
	ds_read_b128 v[2:5], v30 offset:12288
	s_waitcnt vmcnt(2) lgkmcnt(1)
	v_mul_f64 v[6:7], v[38:39], v[20:21]
	v_fma_f64 v[58:59], v[36:37], v[18:19], -v[6:7]
	ds_read_b128 v[6:9], v30 offset:13312
	v_mul_f64 v[60:61], v[36:37], v[20:21]
	v_fmac_f64_e32 v[60:61], v[38:39], v[18:19]
	s_waitcnt vmcnt(1) lgkmcnt(1)
	v_mul_f64 v[10:11], v[4:5], v[24:25]
	v_fma_f64 v[62:63], v[2:3], v[22:23], -v[10:11]
	v_mul_i32_i24_e32 v10, 0xfffffd00, v69
	v_add3_u32 v31, v27, s3, v10
	v_mov_b32_e32 v27, 14
	v_mul_f64 v[64:65], v[2:3], v[24:25]
	s_waitcnt vmcnt(0) lgkmcnt(0)
	v_mul_f64 v[2:3], v[8:9], v[34:35]
	v_mul_u32_u24_sdwa v10, v75, v27 dst_sel:DWORD dst_unused:UNUSED_PAD src0_sel:BYTE_1 src1_sel:DWORD
	v_lshlrev_b32_e32 v11, 7, v83
	v_fma_f64 v[70:71], v[6:7], v[32:33], -v[2:3]
	v_add_f64 v[2:3], v[48:49], -v[28:29]
	v_add_lshl_u32 v28, v10, v76, 7
	v_lshlrev_b32_e32 v10, 7, v66
	v_add3_u32 v14, 0, v11, v26
	v_lshlrev_b32_e32 v11, 7, v84
	v_fmac_f64_e32 v[64:65], v[4:5], v[22:23]
	v_add3_u32 v22, 0, v10, v26
	v_lshlrev_b32_e32 v10, 7, v74
	v_add3_u32 v18, 0, v11, v26
	v_lshlrev_b32_e32 v11, 7, v89
	v_mul_f64 v[72:73], v[6:7], v[34:35]
	v_add3_u32 v10, 0, v10, v26
	v_add3_u32 v23, 0, v11, v26
	v_fmac_f64_e32 v[72:73], v[8:9], v[32:33]
	ds_read_b128 v[10:13], v10
	ds_read_b128 v[14:17], v14
	ds_read_b128 v[18:21], v18
	ds_read_b128 v[32:35], v23
	ds_read_b128 v[22:25], v22
	ds_read_b128 v[36:39], v31
	v_add_f64 v[4:5], v[50:51], -v[52:53]
	v_fma_f64 v[6:7], v[48:49], 2.0, -v[2:3]
	v_fma_f64 v[8:9], v[50:51], 2.0, -v[4:5]
	v_add3_u32 v28, 0, v28, v26
	s_waitcnt lgkmcnt(0)
	; wave barrier
	s_waitcnt lgkmcnt(0)
	ds_write_b128 v28, v[6:9]
	ds_write_b128 v28, v[2:5] offset:896
	v_mul_u32_u24_sdwa v28, v77, v27 dst_sel:DWORD dst_unused:UNUSED_PAD src0_sel:BYTE_1 src1_sel:DWORD
	v_add_f64 v[2:3], v[36:37], -v[54:55]
	v_add_f64 v[4:5], v[38:39], -v[40:41]
	v_add_lshl_u32 v28, v28, v78, 7
	v_fma_f64 v[6:7], v[36:37], 2.0, -v[2:3]
	v_fma_f64 v[8:9], v[38:39], 2.0, -v[4:5]
	v_add3_u32 v28, 0, v28, v26
	ds_write_b128 v28, v[6:9]
	ds_write_b128 v28, v[2:5] offset:896
	v_mul_u32_u24_sdwa v28, v79, v27 dst_sel:DWORD dst_unused:UNUSED_PAD src0_sel:BYTE_1 src1_sel:DWORD
	v_add_f64 v[36:37], v[22:23], -v[42:43]
	v_add_f64 v[38:39], v[24:25], -v[44:45]
	v_add_lshl_u32 v28, v28, v80, 7
	v_fma_f64 v[40:41], v[22:23], 2.0, -v[36:37]
	v_fma_f64 v[42:43], v[24:25], 2.0, -v[38:39]
	v_add3_u32 v28, 0, v28, v26
	;; [unrolled: 9-line block ×4, first 2 shown]
	ds_write_b128 v28, v[10:13]
	ds_write_b128 v28, v[2:5] offset:896
	v_mul_u32_u24_sdwa v28, v87, v27 dst_sel:DWORD dst_unused:UNUSED_PAD src0_sel:BYTE_1 src1_sel:DWORD
	v_mul_u32_u24_sdwa v27, v90, v27 dst_sel:DWORD dst_unused:UNUSED_PAD src0_sel:BYTE_1 src1_sel:DWORD
	v_add_f64 v[14:15], v[18:19], -v[62:63]
	v_add_f64 v[16:17], v[20:21], -v[64:65]
	;; [unrolled: 1-line block ×4, first 2 shown]
	v_add_lshl_u32 v28, v28, v88, 7
	v_add_lshl_u32 v27, v27, v91, 7
	v_fma_f64 v[6:7], v[18:19], 2.0, -v[14:15]
	v_fma_f64 v[8:9], v[20:21], 2.0, -v[16:17]
	;; [unrolled: 1-line block ×4, first 2 shown]
	v_add3_u32 v28, 0, v28, v26
	v_add3_u32 v26, 0, v27, v26
	ds_write_b128 v28, v[6:9]
	ds_write_b128 v28, v[14:17] offset:896
	ds_write_b128 v26, v[18:21]
	ds_write_b128 v26, v[22:25] offset:896
	s_waitcnt lgkmcnt(0)
	; wave barrier
	s_waitcnt lgkmcnt(0)
	ds_read_b128 v[34:37], v30
	ds_read_b128 v[62:65], v30 offset:1792
	ds_read_b128 v[58:61], v30 offset:3584
	;; [unrolled: 1-line block ×7, first 2 shown]
                                        ; implicit-def: $vgpr28_vgpr29
                                        ; implicit-def: $vgpr32_vgpr33
	s_and_saveexec_b64 s[8:9], vcc
	s_cbranch_execz .LBB0_2
; %bb.1:
	ds_read_b128 v[2:5], v30 offset:2816
	ds_read_b128 v[6:9], v30 offset:4608
	;; [unrolled: 1-line block ×6, first 2 shown]
	ds_read_b128 v[10:13], v31
	ds_read_b128 v[30:33], v30 offset:13568
.LBB0_2:
	s_or_b64 exec, exec, s[8:9]
	v_mul_u32_u24_e32 v66, 7, v68
	v_lshlrev_b32_e32 v66, 4, v66
	global_load_dwordx4 v[70:73], v66, s[4:5] offset:112
	global_load_dwordx4 v[74:77], v66, s[4:5] offset:128
	;; [unrolled: 1-line block ×7, first 2 shown]
	s_mul_i32 s3, s7, s31
	s_mul_hi_u32 s8, s6, s31
	s_mul_i32 s10, s6, s31
	s_mov_b32 s6, 0x667f3bcd
	s_mov_b32 s7, 0xbfe6a09e
	;; [unrolled: 1-line block ×3, first 2 shown]
	s_add_i32 s11, s8, s3
	s_mov_b32 s8, s6
	v_or_b32_e32 v1, s30, v1
	v_sub_u32_e32 v0, v0, v0
	v_add_u32_e32 v0, v0, v68
	s_waitcnt vmcnt(6) lgkmcnt(6)
	v_mul_f64 v[98:99], v[64:65], v[72:73]
	v_mul_f64 v[72:73], v[62:63], v[72:73]
	s_waitcnt vmcnt(5) lgkmcnt(5)
	v_mul_f64 v[100:101], v[60:61], v[76:77]
	v_mul_f64 v[76:77], v[58:59], v[76:77]
	;; [unrolled: 3-line block ×7, first 2 shown]
	v_fma_f64 v[62:63], v[62:63], v[70:71], -v[98:99]
	v_fmac_f64_e32 v[72:73], v[64:65], v[70:71]
	v_fma_f64 v[58:59], v[58:59], v[74:75], -v[100:101]
	v_fmac_f64_e32 v[76:77], v[60:61], v[74:75]
	;; [unrolled: 2-line block ×7, first 2 shown]
	v_add_f64 v[42:43], v[34:35], -v[42:43]
	v_add_f64 v[46:47], v[36:37], -v[84:85]
	;; [unrolled: 1-line block ×8, first 2 shown]
	v_fma_f64 v[34:35], v[34:35], 2.0, -v[42:43]
	v_fma_f64 v[36:37], v[36:37], 2.0, -v[46:47]
	;; [unrolled: 1-line block ×8, first 2 shown]
	v_add_f64 v[70:71], v[42:43], -v[48:49]
	v_add_f64 v[72:73], v[46:47], v[40:41]
	v_add_f64 v[76:77], v[52:53], v[44:45]
	v_add_f64 v[74:75], v[38:39], -v[54:55]
	v_add_f64 v[48:49], v[34:35], -v[56:57]
	;; [unrolled: 1-line block ×3, first 2 shown]
	v_fma_f64 v[54:55], v[42:43], 2.0, -v[70:71]
	v_fma_f64 v[56:57], v[46:47], 2.0, -v[72:73]
	v_add_f64 v[40:41], v[60:61], -v[50:51]
	v_add_f64 v[42:43], v[62:63], -v[64:65]
	v_fma_f64 v[50:51], v[52:53], 2.0, -v[76:77]
	v_fma_f64 v[46:47], v[38:39], 2.0, -v[74:75]
	;; [unrolled: 1-line block ×4, first 2 shown]
	v_fma_f64 v[36:37], s[6:7], v[50:51], v[56:57]
	v_add_f64 v[38:39], v[48:49], -v[42:43]
	v_add_f64 v[40:41], v[58:59], v[40:41]
	v_fma_f64 v[52:53], v[34:35], 2.0, -v[48:49]
	v_fma_f64 v[34:35], s[6:7], v[46:47], v[54:55]
	v_fmac_f64_e32 v[36:37], s[8:9], v[46:47]
	v_fma_f64 v[46:47], v[48:49], 2.0, -v[38:39]
	v_fma_f64 v[48:49], v[58:59], 2.0, -v[40:41]
	v_fma_f64 v[58:59], s[8:9], v[74:75], v[70:71]
	v_fma_f64 v[60:61], v[62:63], 2.0, -v[42:43]
	v_fmac_f64_e32 v[58:59], s[6:7], v[76:77]
	v_add_f64 v[42:43], v[52:53], -v[44:45]
	v_add_f64 v[44:45], v[64:65], -v[60:61]
	v_fma_f64 v[60:61], s[8:9], v[76:77], v[72:73]
	v_fma_f64 v[62:63], v[70:71], 2.0, -v[58:59]
	v_mad_u64_u32 v[70:71], s[12:13], s0, v1, 0
	v_fmac_f64_e32 v[60:61], s[8:9], v[74:75]
	v_mov_b32_e32 v66, v71
	v_fmac_f64_e32 v[34:35], s[6:7], v[50:51]
	v_fma_f64 v[50:51], v[52:53], 2.0, -v[42:43]
	v_fma_f64 v[52:53], v[64:65], 2.0, -v[44:45]
	;; [unrolled: 1-line block ×3, first 2 shown]
	v_mad_u64_u32 v[72:73], s[0:1], s1, v1, v[66:67]
	s_lshl_b64 s[0:1], s[10:11], 4
	s_add_u32 s0, s0, s14
	v_mov_b32_e32 v71, v72
	s_addc_u32 s1, s1, s15
	v_mul_lo_u32 v66, v0, s2
	v_lshl_add_u64 v[0:1], v[70:71], 4, s[0:1]
	s_mul_i32 s0, s2, 14
	v_lshl_add_u64 v[70:71], v[66:67], 4, v[0:1]
	v_add_u32_e32 v66, s0, v66
	v_fma_f64 v[54:55], v[54:55], 2.0, -v[34:35]
	v_fma_f64 v[56:57], v[56:57], 2.0, -v[36:37]
	global_store_dwordx4 v[70:71], v[50:53], off
	s_nop 1
	v_lshl_add_u64 v[50:51], v[66:67], 4, v[0:1]
	v_add_u32_e32 v66, s0, v66
	global_store_dwordx4 v[50:51], v[54:57], off
	v_lshl_add_u64 v[50:51], v[66:67], 4, v[0:1]
	v_add_u32_e32 v66, s0, v66
	global_store_dwordx4 v[50:51], v[46:49], off
	s_nop 1
	v_lshl_add_u64 v[46:47], v[66:67], 4, v[0:1]
	v_add_u32_e32 v66, s0, v66
	global_store_dwordx4 v[46:47], v[62:65], off
	v_lshl_add_u64 v[46:47], v[66:67], 4, v[0:1]
	v_add_u32_e32 v66, s0, v66
	global_store_dwordx4 v[46:47], v[42:45], off
	s_nop 1
	v_lshl_add_u64 v[42:43], v[66:67], 4, v[0:1]
	v_add_u32_e32 v66, s0, v66
	global_store_dwordx4 v[42:43], v[34:37], off
	s_nop 1
	v_lshl_add_u64 v[34:35], v[66:67], 4, v[0:1]
	v_add_u32_e32 v66, s0, v66
	global_store_dwordx4 v[34:35], v[38:41], off
	v_lshl_add_u64 v[34:35], v[66:67], 4, v[0:1]
	global_store_dwordx4 v[34:35], v[58:61], off
	s_and_saveexec_b64 s[10:11], vcc
	s_cbranch_execz .LBB0_4
; %bb.3:
	v_mul_lo_u16_e32 v34, 19, v69
	v_mov_b32_e32 v35, 14
	v_mul_lo_u16_sdwa v34, v34, v35 dst_sel:DWORD dst_unused:UNUSED_PAD src0_sel:BYTE_1 src1_sel:DWORD
	v_sub_u16_e32 v34, v69, v34
	v_mul_lo_u16_e32 v34, 7, v34
	v_mov_b32_e32 v35, 4
	v_lshlrev_b32_sdwa v62, v35, v34 dst_sel:DWORD dst_unused:UNUSED_PAD src0_sel:DWORD src1_sel:BYTE_0
	global_load_dwordx4 v[34:37], v62, s[4:5] offset:128
	global_load_dwordx4 v[38:41], v62, s[4:5] offset:192
	;; [unrolled: 1-line block ×7, first 2 shown]
	s_waitcnt vmcnt(6)
	v_mul_f64 v[62:63], v[8:9], v[36:37]
	s_waitcnt vmcnt(5)
	v_mul_f64 v[64:65], v[28:29], v[40:41]
	;; [unrolled: 2-line block ×7, first 2 shown]
	v_mul_f64 v[48:49], v[2:3], v[48:49]
	v_mul_f64 v[52:53], v[22:23], v[52:53]
	;; [unrolled: 1-line block ×7, first 2 shown]
	v_fma_f64 v[6:7], v[6:7], v[34:35], -v[62:63]
	v_fma_f64 v[26:27], v[26:27], v[38:39], -v[64:65]
	v_fmac_f64_e32 v[66:67], v[20:21], v[42:43]
	v_fma_f64 v[2:3], v[2:3], v[46:47], -v[70:71]
	v_fma_f64 v[20:21], v[22:23], v[50:51], -v[72:73]
	v_fmac_f64_e32 v[74:75], v[16:17], v[54:55]
	v_fmac_f64_e32 v[76:77], v[32:33], v[58:59]
	;; [unrolled: 1-line block ×4, first 2 shown]
	v_fma_f64 v[4:5], v[14:15], v[54:55], -v[56:57]
	v_fma_f64 v[14:15], v[30:31], v[58:59], -v[60:61]
	;; [unrolled: 1-line block ×3, first 2 shown]
	v_fmac_f64_e32 v[36:37], v[8:9], v[34:35]
	v_fmac_f64_e32 v[40:41], v[28:29], v[38:39]
	v_add_f64 v[8:9], v[6:7], -v[26:27]
	v_add_f64 v[18:19], v[12:13], -v[66:67]
	;; [unrolled: 1-line block ×8, first 2 shown]
	v_add_f64 v[28:29], v[18:19], v[8:9]
	v_add_f64 v[30:31], v[20:21], -v[22:23]
	v_add_f64 v[32:33], v[24:25], v[14:15]
	v_add_f64 v[34:35], v[16:17], -v[26:27]
	v_fma_f64 v[38:39], v[12:13], 2.0, -v[18:19]
	v_fma_f64 v[12:13], v[36:37], 2.0, -v[26:27]
	;; [unrolled: 1-line block ×8, first 2 shown]
	v_fma_f64 v[4:5], s[8:9], v[32:33], v[28:29]
	v_fma_f64 v[2:3], s[8:9], v[30:31], v[34:35]
	v_add_f64 v[22:23], v[38:39], -v[12:13]
	v_add_f64 v[14:15], v[26:27], -v[14:15]
	;; [unrolled: 1-line block ×4, first 2 shown]
	v_fma_f64 v[48:49], v[20:21], 2.0, -v[30:31]
	v_fma_f64 v[50:51], v[16:17], 2.0, -v[34:35]
	;; [unrolled: 1-line block ×4, first 2 shown]
	v_fmac_f64_e32 v[4:5], s[8:9], v[30:31]
	v_fmac_f64_e32 v[2:3], s[6:7], v[32:33]
	v_add_f64 v[8:9], v[22:23], v[14:15]
	v_fma_f64 v[10:11], s[6:7], v[48:49], v[50:51]
	v_fma_f64 v[30:31], v[38:39], 2.0, -v[22:23]
	v_fma_f64 v[32:33], v[40:41], 2.0, -v[44:45]
	;; [unrolled: 1-line block ×4, first 2 shown]
	v_fma_f64 v[12:13], s[6:7], v[24:25], v[46:47]
	v_fma_f64 v[14:15], v[34:35], 2.0, -v[2:3]
	v_fma_f64 v[20:21], v[22:23], 2.0, -v[8:9]
	v_fmac_f64_e32 v[10:11], s[6:7], v[24:25]
	v_add_f64 v[24:25], v[30:31], -v[32:33]
	v_add_f64 v[22:23], v[36:37], -v[26:27]
	v_mul_lo_u32 v34, v69, s2
	v_mov_b32_e32 v35, 0
	v_fma_f64 v[32:33], v[30:31], 2.0, -v[24:25]
	v_fma_f64 v[30:31], v[36:37], 2.0, -v[22:23]
	v_lshl_add_u64 v[36:37], v[34:35], 4, v[0:1]
	global_store_dwordx4 v[36:37], v[30:33], off
	v_fmac_f64_e32 v[12:13], s[8:9], v[48:49]
	v_add_f64 v[6:7], v[42:43], -v[44:45]
	v_add_u32_e32 v30, 22, v68
	v_mul_lo_u32 v34, v30, s2
	v_fma_f64 v[16:17], v[28:29], 2.0, -v[4:5]
	v_fma_f64 v[28:29], v[46:47], 2.0, -v[12:13]
	;; [unrolled: 1-line block ×3, first 2 shown]
	v_lshl_add_u64 v[30:31], v[34:35], 4, v[0:1]
	v_add_u32_e32 v34, s0, v34
	v_fma_f64 v[18:19], v[42:43], 2.0, -v[6:7]
	global_store_dwordx4 v[30:31], v[26:29], off
	s_nop 1
	v_lshl_add_u64 v[26:27], v[34:35], 4, v[0:1]
	v_add_u32_e32 v34, s0, v34
	global_store_dwordx4 v[26:27], v[18:21], off
	s_nop 1
	v_lshl_add_u64 v[18:19], v[34:35], 4, v[0:1]
	global_store_dwordx4 v[18:19], v[14:17], off
	s_nop 1
	v_or_b32_e32 v14, 64, v68
	v_mul_lo_u32 v14, v14, s2
	v_mov_b32_e32 v15, v35
	v_lshl_add_u64 v[14:15], v[14:15], 4, v[0:1]
	global_store_dwordx4 v[14:15], v[22:25], off
	v_mad_u64_u32 v[14:15], s[2:3], s2, 28, v[34:35]
	v_mov_b32_e32 v15, v35
	v_lshl_add_u64 v[16:17], v[14:15], 4, v[0:1]
	v_add_u32_e32 v34, s0, v14
	global_store_dwordx4 v[16:17], v[10:13], off
	s_nop 1
	v_lshl_add_u64 v[10:11], v[34:35], 4, v[0:1]
	v_add_u32_e32 v34, s0, v34
	v_lshl_add_u64 v[0:1], v[34:35], 4, v[0:1]
	global_store_dwordx4 v[10:11], v[6:9], off
	global_store_dwordx4 v[0:1], v[2:5], off
.LBB0_4:
	s_endpgm
	.section	.rodata,"a",@progbits
	.p2align	6, 0x0
	.amdhsa_kernel fft_rtc_fwd_len112_factors_7_2_8_wgs_64_tpt_8_dim2_dp_op_CI_CI_sbrc_aligned_dirReg
		.amdhsa_group_segment_fixed_size 0
		.amdhsa_private_segment_fixed_size 0
		.amdhsa_kernarg_size 96
		.amdhsa_user_sgpr_count 2
		.amdhsa_user_sgpr_dispatch_ptr 0
		.amdhsa_user_sgpr_queue_ptr 0
		.amdhsa_user_sgpr_kernarg_segment_ptr 1
		.amdhsa_user_sgpr_dispatch_id 0
		.amdhsa_user_sgpr_kernarg_preload_length 0
		.amdhsa_user_sgpr_kernarg_preload_offset 0
		.amdhsa_user_sgpr_private_segment_size 0
		.amdhsa_uses_dynamic_stack 0
		.amdhsa_enable_private_segment 0
		.amdhsa_system_sgpr_workgroup_id_x 1
		.amdhsa_system_sgpr_workgroup_id_y 0
		.amdhsa_system_sgpr_workgroup_id_z 0
		.amdhsa_system_sgpr_workgroup_info 0
		.amdhsa_system_vgpr_workitem_id 0
		.amdhsa_next_free_vgpr 112
		.amdhsa_next_free_sgpr 32
		.amdhsa_accum_offset 112
		.amdhsa_reserve_vcc 1
		.amdhsa_float_round_mode_32 0
		.amdhsa_float_round_mode_16_64 0
		.amdhsa_float_denorm_mode_32 3
		.amdhsa_float_denorm_mode_16_64 3
		.amdhsa_dx10_clamp 1
		.amdhsa_ieee_mode 1
		.amdhsa_fp16_overflow 0
		.amdhsa_tg_split 0
		.amdhsa_exception_fp_ieee_invalid_op 0
		.amdhsa_exception_fp_denorm_src 0
		.amdhsa_exception_fp_ieee_div_zero 0
		.amdhsa_exception_fp_ieee_overflow 0
		.amdhsa_exception_fp_ieee_underflow 0
		.amdhsa_exception_fp_ieee_inexact 0
		.amdhsa_exception_int_div_zero 0
	.end_amdhsa_kernel
	.text
.Lfunc_end0:
	.size	fft_rtc_fwd_len112_factors_7_2_8_wgs_64_tpt_8_dim2_dp_op_CI_CI_sbrc_aligned_dirReg, .Lfunc_end0-fft_rtc_fwd_len112_factors_7_2_8_wgs_64_tpt_8_dim2_dp_op_CI_CI_sbrc_aligned_dirReg
                                        ; -- End function
	.section	.AMDGPU.csdata,"",@progbits
; Kernel info:
; codeLenInByte = 6844
; NumSgprs: 38
; NumVgprs: 112
; NumAgprs: 0
; TotalNumVgprs: 112
; ScratchSize: 0
; MemoryBound: 0
; FloatMode: 240
; IeeeMode: 1
; LDSByteSize: 0 bytes/workgroup (compile time only)
; SGPRBlocks: 4
; VGPRBlocks: 13
; NumSGPRsForWavesPerEU: 38
; NumVGPRsForWavesPerEU: 112
; AccumOffset: 112
; Occupancy: 4
; WaveLimiterHint : 1
; COMPUTE_PGM_RSRC2:SCRATCH_EN: 0
; COMPUTE_PGM_RSRC2:USER_SGPR: 2
; COMPUTE_PGM_RSRC2:TRAP_HANDLER: 0
; COMPUTE_PGM_RSRC2:TGID_X_EN: 1
; COMPUTE_PGM_RSRC2:TGID_Y_EN: 0
; COMPUTE_PGM_RSRC2:TGID_Z_EN: 0
; COMPUTE_PGM_RSRC2:TIDIG_COMP_CNT: 0
; COMPUTE_PGM_RSRC3_GFX90A:ACCUM_OFFSET: 27
; COMPUTE_PGM_RSRC3_GFX90A:TG_SPLIT: 0
	.text
	.p2alignl 6, 3212836864
	.fill 256, 4, 3212836864
	.type	__hip_cuid_16d7bea8397ab244,@object ; @__hip_cuid_16d7bea8397ab244
	.section	.bss,"aw",@nobits
	.globl	__hip_cuid_16d7bea8397ab244
__hip_cuid_16d7bea8397ab244:
	.byte	0                               ; 0x0
	.size	__hip_cuid_16d7bea8397ab244, 1

	.ident	"AMD clang version 19.0.0git (https://github.com/RadeonOpenCompute/llvm-project roc-6.4.0 25133 c7fe45cf4b819c5991fe208aaa96edf142730f1d)"
	.section	".note.GNU-stack","",@progbits
	.addrsig
	.addrsig_sym __hip_cuid_16d7bea8397ab244
	.amdgpu_metadata
---
amdhsa.kernels:
  - .agpr_count:     0
    .args:
      - .actual_access:  read_only
        .address_space:  global
        .offset:         0
        .size:           8
        .value_kind:     global_buffer
      - .actual_access:  read_only
        .address_space:  global
        .offset:         8
        .size:           8
        .value_kind:     global_buffer
      - .actual_access:  read_only
        .address_space:  global
        .offset:         16
        .size:           8
        .value_kind:     global_buffer
      - .actual_access:  read_only
        .address_space:  global
        .offset:         24
        .size:           8
        .value_kind:     global_buffer
      - .offset:         32
        .size:           8
        .value_kind:     by_value
      - .actual_access:  read_only
        .address_space:  global
        .offset:         40
        .size:           8
        .value_kind:     global_buffer
      - .actual_access:  read_only
        .address_space:  global
        .offset:         48
        .size:           8
        .value_kind:     global_buffer
      - .offset:         56
        .size:           4
        .value_kind:     by_value
      - .actual_access:  read_only
        .address_space:  global
        .offset:         64
        .size:           8
        .value_kind:     global_buffer
      - .actual_access:  read_only
        .address_space:  global
        .offset:         72
        .size:           8
        .value_kind:     global_buffer
      - .actual_access:  read_only
        .address_space:  global
        .offset:         80
        .size:           8
        .value_kind:     global_buffer
      - .actual_access:  write_only
        .address_space:  global
        .offset:         88
        .size:           8
        .value_kind:     global_buffer
    .group_segment_fixed_size: 0
    .kernarg_segment_align: 8
    .kernarg_segment_size: 96
    .language:       OpenCL C
    .language_version:
      - 2
      - 0
    .max_flat_workgroup_size: 64
    .name:           fft_rtc_fwd_len112_factors_7_2_8_wgs_64_tpt_8_dim2_dp_op_CI_CI_sbrc_aligned_dirReg
    .private_segment_fixed_size: 0
    .sgpr_count:     38
    .sgpr_spill_count: 0
    .symbol:         fft_rtc_fwd_len112_factors_7_2_8_wgs_64_tpt_8_dim2_dp_op_CI_CI_sbrc_aligned_dirReg.kd
    .uniform_work_group_size: 1
    .uses_dynamic_stack: false
    .vgpr_count:     112
    .vgpr_spill_count: 0
    .wavefront_size: 64
amdhsa.target:   amdgcn-amd-amdhsa--gfx950
amdhsa.version:
  - 1
  - 2
...

	.end_amdgpu_metadata
